;; amdgpu-corpus repo=triton-lang/triton kind=triton arch=gfx1201 opt=O3 lang=triton
	.amdgcn_target "amdgcn-amd-amdhsa--gfx1201"
	.amdhsa_code_object_version 5
	.text
	.globl	mxfp_to_bf16_kernel             ; -- Begin function mxfp_to_bf16_kernel
	.p2align	8
	.type	mxfp_to_bf16_kernel,@function
mxfp_to_bf16_kernel:                    ; @mxfp_to_bf16_kernel
.Lfunc_begin0:
	.file	1 "/root/src/amdgpu-assembly/repos/triton-lang__triton-aot" "mxfp_to_bf16.py"
	.loc	1 8 0                           ; mxfp_to_bf16.py:8:0
	.cfi_sections .debug_frame
	.cfi_startproc
; %bb.0:
	s_clause 0x1
	s_load_b32 s13, s[0:1], 0x18
	s_load_b64 s[4:5], s[0:1], 0x0
.Ltmp0:
	.loc	1 73 59 prologue_end            ; mxfp_to_bf16.py:73:59
	s_bfe_u32 s12, ttmp8, 0x50019
	v_dual_mov_b32 v9, 0 :: v_dual_and_b32 v0, 31, v0
	.loc	1 27 73                         ; mxfp_to_bf16.py:27:73
	s_and_b32 s2, s12, 7
	.loc	1 27 34 is_stmt 0               ; mxfp_to_bf16.py:27:34
	s_lshl_b32 s11, ttmp9, 11
	.loc	1 27 84                         ; mxfp_to_bf16.py:27:84
	s_lshl_b32 s3, s2, 5
	v_mov_b32_e32 v11, 0
	.loc	1 28 15 is_stmt 1               ; mxfp_to_bf16.py:28:15
	v_or3_b32 v1, s3, s11, v0
	.loc	1 29 16                         ; mxfp_to_bf16.py:29:16
	s_mov_b32 s3, exec_lo
	.loc	1 29 52 is_stmt 0               ; mxfp_to_bf16.py:29:52
	s_wait_kmcnt 0x0
	s_lshl_b32 s10, s13, 5
	.loc	1 29 48                         ; mxfp_to_bf16.py:29:48
	s_wait_alu depctr_sa_sdst(0)
	v_cmpx_gt_i32_e64 s10, v1
	.loc	1 29 16                         ; mxfp_to_bf16.py:29:16
	s_cbranch_execz .LBB0_2
; %bb.1:
	.loc	1 0 16                          ; mxfp_to_bf16.py:0:16
	v_ashrrev_i32_e32 v2, 31, v1
	v_add_co_u32 v1, vcc_lo, s4, v1
	s_delay_alu instid0(VALU_DEP_1)
	v_add_co_ci_u32_e64 v2, null, s5, v2, vcc_lo
	.loc	1 29 16                         ; mxfp_to_bf16.py:29:16
	global_load_u8 v11, v[1:2], off
.LBB0_2:
	.loc	1 0 16                          ; mxfp_to_bf16.py:0:16
	s_or_b32 exec_lo, exec_lo, s3
	.loc	1 27 73 is_stmt 1               ; mxfp_to_bf16.py:27:73
	s_or_b32 s14, s2, 8
	s_delay_alu instid0(SALU_CYCLE_1) | instskip(SKIP_3) | instid1(VALU_DEP_1)
	.loc	1 27 84 is_stmt 0               ; mxfp_to_bf16.py:27:84
	s_lshl_b32 s3, s14, 5
	.loc	1 28 15 is_stmt 1               ; mxfp_to_bf16.py:28:15
	s_wait_alu depctr_sa_sdst(0)
	v_or3_b32 v1, s3, s11, v0
	.loc	1 29 16                         ; mxfp_to_bf16.py:29:16
	s_mov_b32 s3, exec_lo
	.loc	1 29 48 is_stmt 0               ; mxfp_to_bf16.py:29:48
	v_cmpx_gt_i32_e64 s10, v1
	.loc	1 29 16                         ; mxfp_to_bf16.py:29:16
	s_cbranch_execz .LBB0_4
; %bb.3:
	.loc	1 29 24                         ; mxfp_to_bf16.py:29:24
	v_ashrrev_i32_e32 v2, 31, v1
	v_add_co_u32 v1, vcc_lo, s4, v1
	s_wait_alu depctr_va_vcc(0)
	s_delay_alu instid0(VALU_DEP_2)
	v_add_co_ci_u32_e64 v2, null, s5, v2, vcc_lo
	.loc	1 29 16                         ; mxfp_to_bf16.py:29:16
	global_load_u8 v9, v[1:2], off
.LBB0_4:
	.loc	1 0 16                          ; mxfp_to_bf16.py:0:16
	s_wait_alu depctr_sa_sdst(0)
	s_or_b32 exec_lo, exec_lo, s3
	.loc	1 27 73 is_stmt 1               ; mxfp_to_bf16.py:27:73
	s_or_b32 s15, s2, 16
	v_dual_mov_b32 v7, 0 :: v_dual_mov_b32 v10, 0
	.loc	1 27 84 is_stmt 0               ; mxfp_to_bf16.py:27:84
	s_lshl_b32 s3, s15, 5
	.loc	1 28 15 is_stmt 1               ; mxfp_to_bf16.py:28:15
	s_wait_alu depctr_sa_sdst(0)
	v_or3_b32 v1, s3, s11, v0
	.loc	1 29 16                         ; mxfp_to_bf16.py:29:16
	s_mov_b32 s3, exec_lo
	s_delay_alu instid0(VALU_DEP_1)
	.loc	1 29 48 is_stmt 0               ; mxfp_to_bf16.py:29:48
	v_cmpx_gt_i32_e64 s10, v1
	.loc	1 29 16                         ; mxfp_to_bf16.py:29:16
	s_cbranch_execz .LBB0_6
; %bb.5:
	.loc	1 29 24                         ; mxfp_to_bf16.py:29:24
	v_ashrrev_i32_e32 v2, 31, v1
	v_add_co_u32 v1, vcc_lo, s4, v1
	s_wait_alu depctr_va_vcc(0)
	s_delay_alu instid0(VALU_DEP_2)
	v_add_co_ci_u32_e64 v2, null, s5, v2, vcc_lo
	.loc	1 29 16                         ; mxfp_to_bf16.py:29:16
	global_load_u8 v10, v[1:2], off
.LBB0_6:
	.loc	1 0 16                          ; mxfp_to_bf16.py:0:16
	s_wait_alu depctr_sa_sdst(0)
	s_or_b32 exec_lo, exec_lo, s3
	.loc	1 27 73 is_stmt 1               ; mxfp_to_bf16.py:27:73
	s_or_b32 s16, s2, 24
	s_delay_alu instid0(SALU_CYCLE_1) | instskip(SKIP_3) | instid1(VALU_DEP_1)
	.loc	1 27 84 is_stmt 0               ; mxfp_to_bf16.py:27:84
	s_lshl_b32 s3, s16, 5
	.loc	1 28 15 is_stmt 1               ; mxfp_to_bf16.py:28:15
	s_wait_alu depctr_sa_sdst(0)
	v_or3_b32 v1, s3, s11, v0
	.loc	1 29 16                         ; mxfp_to_bf16.py:29:16
	s_mov_b32 s3, exec_lo
	.loc	1 29 48 is_stmt 0               ; mxfp_to_bf16.py:29:48
	v_cmpx_gt_i32_e64 s10, v1
	.loc	1 29 16                         ; mxfp_to_bf16.py:29:16
	s_cbranch_execz .LBB0_8
; %bb.7:
	.loc	1 29 24                         ; mxfp_to_bf16.py:29:24
	v_ashrrev_i32_e32 v2, 31, v1
	v_add_co_u32 v1, vcc_lo, s4, v1
	s_wait_alu depctr_va_vcc(0)
	s_delay_alu instid0(VALU_DEP_2)
	v_add_co_ci_u32_e64 v2, null, s5, v2, vcc_lo
	.loc	1 29 16                         ; mxfp_to_bf16.py:29:16
	global_load_u8 v7, v[1:2], off
.LBB0_8:
	.loc	1 0 16                          ; mxfp_to_bf16.py:0:16
	s_wait_alu depctr_sa_sdst(0)
	s_or_b32 exec_lo, exec_lo, s3
	.loc	1 27 73 is_stmt 1               ; mxfp_to_bf16.py:27:73
	s_or_b32 s17, s2, 32
	v_dual_mov_b32 v5, 0 :: v_dual_mov_b32 v8, 0
	.loc	1 27 84 is_stmt 0               ; mxfp_to_bf16.py:27:84
	s_lshl_b32 s3, s17, 5
	.loc	1 28 15 is_stmt 1               ; mxfp_to_bf16.py:28:15
	s_wait_alu depctr_sa_sdst(0)
	v_or3_b32 v1, s3, s11, v0
	.loc	1 29 16                         ; mxfp_to_bf16.py:29:16
	s_mov_b32 s3, exec_lo
	s_delay_alu instid0(VALU_DEP_1)
	.loc	1 29 48 is_stmt 0               ; mxfp_to_bf16.py:29:48
	v_cmpx_gt_i32_e64 s10, v1
	.loc	1 29 16                         ; mxfp_to_bf16.py:29:16
	s_cbranch_execz .LBB0_10
; %bb.9:
	.loc	1 29 24                         ; mxfp_to_bf16.py:29:24
	v_ashrrev_i32_e32 v2, 31, v1
	v_add_co_u32 v1, vcc_lo, s4, v1
	s_wait_alu depctr_va_vcc(0)
	s_delay_alu instid0(VALU_DEP_2)
	v_add_co_ci_u32_e64 v2, null, s5, v2, vcc_lo
	.loc	1 29 16                         ; mxfp_to_bf16.py:29:16
	global_load_u8 v8, v[1:2], off
.LBB0_10:
	.loc	1 0 16                          ; mxfp_to_bf16.py:0:16
	s_wait_alu depctr_sa_sdst(0)
	s_or_b32 exec_lo, exec_lo, s3
	.loc	1 27 73 is_stmt 1               ; mxfp_to_bf16.py:27:73
	s_or_b32 s19, s2, 40
	s_delay_alu instid0(SALU_CYCLE_1) | instskip(SKIP_3) | instid1(VALU_DEP_1)
	.loc	1 27 84 is_stmt 0               ; mxfp_to_bf16.py:27:84
	s_lshl_b32 s3, s19, 5
	.loc	1 28 15 is_stmt 1               ; mxfp_to_bf16.py:28:15
	s_wait_alu depctr_sa_sdst(0)
	v_or3_b32 v1, s3, s11, v0
	.loc	1 29 16                         ; mxfp_to_bf16.py:29:16
	s_mov_b32 s3, exec_lo
	.loc	1 29 48 is_stmt 0               ; mxfp_to_bf16.py:29:48
	v_cmpx_gt_i32_e64 s10, v1
	.loc	1 29 16                         ; mxfp_to_bf16.py:29:16
	s_cbranch_execz .LBB0_12
; %bb.11:
	.loc	1 29 24                         ; mxfp_to_bf16.py:29:24
	v_ashrrev_i32_e32 v2, 31, v1
	v_add_co_u32 v1, vcc_lo, s4, v1
	s_wait_alu depctr_va_vcc(0)
	s_delay_alu instid0(VALU_DEP_2)
	v_add_co_ci_u32_e64 v2, null, s5, v2, vcc_lo
	.loc	1 29 16                         ; mxfp_to_bf16.py:29:16
	global_load_u8 v5, v[1:2], off
.LBB0_12:
	.loc	1 0 16                          ; mxfp_to_bf16.py:0:16
	s_wait_alu depctr_sa_sdst(0)
	s_or_b32 exec_lo, exec_lo, s3
	.loc	1 27 73 is_stmt 1               ; mxfp_to_bf16.py:27:73
	s_or_b32 s20, s2, 48
	v_mov_b32_e32 v4, 0
	.loc	1 27 84 is_stmt 0               ; mxfp_to_bf16.py:27:84
	s_lshl_b32 s3, s20, 5
	v_mov_b32_e32 v6, 0
	.loc	1 28 15 is_stmt 1               ; mxfp_to_bf16.py:28:15
	s_wait_alu depctr_sa_sdst(0)
	v_or3_b32 v1, s3, s11, v0
	.loc	1 29 16                         ; mxfp_to_bf16.py:29:16
	s_mov_b32 s3, exec_lo
	s_delay_alu instid0(VALU_DEP_1)
	.loc	1 29 48 is_stmt 0               ; mxfp_to_bf16.py:29:48
	v_cmpx_gt_i32_e64 s10, v1
	.loc	1 29 16                         ; mxfp_to_bf16.py:29:16
	s_cbranch_execz .LBB0_14
; %bb.13:
	.loc	1 29 24                         ; mxfp_to_bf16.py:29:24
	v_ashrrev_i32_e32 v2, 31, v1
	v_add_co_u32 v1, vcc_lo, s4, v1
	s_wait_alu depctr_va_vcc(0)
	s_delay_alu instid0(VALU_DEP_2)
	v_add_co_ci_u32_e64 v2, null, s5, v2, vcc_lo
	.loc	1 29 16                         ; mxfp_to_bf16.py:29:16
	global_load_u8 v6, v[1:2], off
.LBB0_14:
	.loc	1 0 16                          ; mxfp_to_bf16.py:0:16
	s_wait_alu depctr_sa_sdst(0)
	s_or_b32 exec_lo, exec_lo, s3
	.loc	1 27 73 is_stmt 1               ; mxfp_to_bf16.py:27:73
	s_or_b32 s21, s2, 56
	s_delay_alu instid0(SALU_CYCLE_1) | instskip(SKIP_3) | instid1(VALU_DEP_1)
	.loc	1 27 84 is_stmt 0               ; mxfp_to_bf16.py:27:84
	s_lshl_b32 s3, s21, 5
	.loc	1 28 15 is_stmt 1               ; mxfp_to_bf16.py:28:15
	s_wait_alu depctr_sa_sdst(0)
	v_or3_b32 v1, s3, s11, v0
	.loc	1 29 16                         ; mxfp_to_bf16.py:29:16
	s_mov_b32 s3, exec_lo
	.loc	1 29 48 is_stmt 0               ; mxfp_to_bf16.py:29:48
	v_cmpx_gt_i32_e64 s10, v1
	.loc	1 29 16                         ; mxfp_to_bf16.py:29:16
	s_cbranch_execz .LBB0_16
; %bb.15:
	.loc	1 29 24                         ; mxfp_to_bf16.py:29:24
	v_ashrrev_i32_e32 v2, 31, v1
	v_add_co_u32 v1, vcc_lo, s4, v1
	s_wait_alu depctr_va_vcc(0)
	s_delay_alu instid0(VALU_DEP_2)
	v_add_co_ci_u32_e64 v2, null, s5, v2, vcc_lo
	.loc	1 29 16                         ; mxfp_to_bf16.py:29:16
	global_load_u8 v4, v[1:2], off
.LBB0_16:
	.loc	1 0 16                          ; mxfp_to_bf16.py:0:16
	s_wait_alu depctr_sa_sdst(0)
	s_or_b32 exec_lo, exec_lo, s3
	s_load_b64 s[6:7], s[0:1], 0x8
	.loc	1 31 33 is_stmt 1               ; mxfp_to_bf16.py:31:33
	s_lshl_b32 s4, ttmp9, 6
	s_mov_b32 s3, 0
	.loc	1 31 48 is_stmt 0               ; mxfp_to_bf16.py:31:48
	s_wait_alu depctr_sa_sdst(0)
	s_or_b32 s8, s4, s2
	s_mov_b32 s18, 0
	.loc	1 32 56 is_stmt 1               ; mxfp_to_bf16.py:32:56
	s_cmp_ge_i32 s8, s13
	.loc	1 32 20 is_stmt 0               ; mxfp_to_bf16.py:32:20
	s_cbranch_scc1 .LBB0_18
; %bb.17:
	.loc	1 0 20                          ; mxfp_to_bf16.py:0:20
	v_mov_b32_e32 v1, 0
	s_ashr_i32 s9, s8, 31
	s_wait_kmcnt 0x0
	s_add_nc_u64 s[8:9], s[6:7], s[8:9]
	.loc	1 32 20                         ; mxfp_to_bf16.py:32:20
	global_load_u8 v1, v1, s[8:9]
	s_wait_loadcnt 0x0
	v_readfirstlane_b32 s18, v1
.LBB0_18:
	.loc	1 32 32                         ; mxfp_to_bf16.py:32:32
	s_ashr_i32 s5, s4, 31
	.loc	1 31 48 is_stmt 1               ; mxfp_to_bf16.py:31:48
	s_or_b32 s14, s14, s4
	s_wait_alu depctr_sa_sdst(0)
	s_add_nc_u64 s[8:9], s[2:3], s[4:5]
	.loc	1 32 56                         ; mxfp_to_bf16.py:32:56
	s_cmp_ge_i32 s14, s13
	.loc	1 32 32 is_stmt 0               ; mxfp_to_bf16.py:32:32
	s_wait_kmcnt 0x0
	s_add_nc_u64 s[6:7], s[6:7], s[8:9]
	.loc	1 32 20                         ; mxfp_to_bf16.py:32:20
	s_cbranch_scc1 .LBB0_20
; %bb.19:
	v_mov_b32_e32 v1, 0
	global_load_u8 v1, v1, s[6:7] offset:8
	s_wait_loadcnt 0x0
	v_readfirstlane_b32 s3, v1
.LBB0_20:
	.loc	1 31 48 is_stmt 1               ; mxfp_to_bf16.py:31:48
	s_or_b32 s2, s15, s4
	s_mov_b32 s14, 0
	.loc	1 32 56                         ; mxfp_to_bf16.py:32:56
	s_wait_alu depctr_sa_sdst(0)
	s_cmp_ge_i32 s2, s13
	s_mov_b32 s15, 0
	.loc	1 32 20 is_stmt 0               ; mxfp_to_bf16.py:32:20
	s_cbranch_scc1 .LBB0_22
; %bb.21:
	v_mov_b32_e32 v1, 0
	global_load_u8 v1, v1, s[6:7] offset:16
	s_wait_loadcnt 0x0
	v_readfirstlane_b32 s15, v1
.LBB0_22:
	.loc	1 31 48 is_stmt 1               ; mxfp_to_bf16.py:31:48
	s_or_b32 s2, s16, s4
	.loc	1 32 56                         ; mxfp_to_bf16.py:32:56
	s_wait_alu depctr_sa_sdst(0)
	s_cmp_ge_i32 s2, s13
	.loc	1 32 20 is_stmt 0               ; mxfp_to_bf16.py:32:20
	s_cbranch_scc1 .LBB0_24
; %bb.23:
	v_mov_b32_e32 v1, 0
	global_load_u8 v1, v1, s[6:7] offset:24
	s_wait_loadcnt 0x0
	v_readfirstlane_b32 s14, v1
.LBB0_24:
	.loc	1 31 48 is_stmt 1               ; mxfp_to_bf16.py:31:48
	s_or_b32 s2, s17, s4
	s_mov_b32 s8, 0
	.loc	1 32 56                         ; mxfp_to_bf16.py:32:56
	s_wait_alu depctr_sa_sdst(0)
	s_cmp_ge_i32 s2, s13
	s_mov_b32 s9, 0
	.loc	1 32 20 is_stmt 0               ; mxfp_to_bf16.py:32:20
	s_cbranch_scc1 .LBB0_26
; %bb.25:
	v_mov_b32_e32 v1, 0
	global_load_u8 v1, v1, s[6:7] offset:32
	s_wait_loadcnt 0x0
	v_readfirstlane_b32 s9, v1
.LBB0_26:
	.loc	1 31 48 is_stmt 1               ; mxfp_to_bf16.py:31:48
	s_or_b32 s2, s19, s4
	.loc	1 32 56                         ; mxfp_to_bf16.py:32:56
	s_wait_alu depctr_sa_sdst(0)
	s_cmp_ge_i32 s2, s13
	.loc	1 32 20 is_stmt 0               ; mxfp_to_bf16.py:32:20
	s_cbranch_scc1 .LBB0_28
; %bb.27:
	v_mov_b32_e32 v1, 0
	global_load_u8 v1, v1, s[6:7] offset:40
	s_wait_loadcnt 0x0
	v_readfirstlane_b32 s8, v1
.LBB0_28:
	.loc	1 0 20                          ; mxfp_to_bf16.py:0:20
	s_load_b64 s[0:1], s[0:1], 0x10
	.loc	1 31 48 is_stmt 1               ; mxfp_to_bf16.py:31:48
	s_or_b32 s5, s20, s4
	s_mov_b32 s2, 0
	.loc	1 32 56                         ; mxfp_to_bf16.py:32:56
	s_wait_alu depctr_sa_sdst(0)
	s_cmp_ge_i32 s5, s13
	s_mov_b32 s5, 0
	.loc	1 32 20 is_stmt 0               ; mxfp_to_bf16.py:32:20
	s_cbranch_scc1 .LBB0_30
; %bb.29:
	v_mov_b32_e32 v1, 0
	global_load_u8 v1, v1, s[6:7] offset:48
	s_wait_loadcnt 0x0
	v_readfirstlane_b32 s5, v1
.LBB0_30:
	.loc	1 31 48 is_stmt 1               ; mxfp_to_bf16.py:31:48
	s_or_b32 s4, s21, s4
	.loc	1 32 56                         ; mxfp_to_bf16.py:32:56
	s_wait_alu depctr_sa_sdst(0)
	s_cmp_ge_i32 s4, s13
	.loc	1 32 20 is_stmt 0               ; mxfp_to_bf16.py:32:20
	s_cbranch_scc1 .LBB0_32
; %bb.31:
	v_mov_b32_e32 v1, 0
	global_load_u8 v1, v1, s[6:7] offset:56
	s_wait_loadcnt 0x0
	v_readfirstlane_b32 s2, v1
.LBB0_32:
	.loc	1 40 29 is_stmt 1               ; mxfp_to_bf16.py:40:29
	s_wait_loadcnt 0x0
	v_lshlrev_b16 v1, 8, v11
	.loc	1 27 73                         ; mxfp_to_bf16.py:27:73
	s_lshl_b32 s4, s12, 5
	.loc	1 73 59                         ; mxfp_to_bf16.py:73:59
	s_wait_alu depctr_sa_sdst(0)
	s_and_b32 s4, s4, 0xe0
	s_delay_alu instid0(VALU_DEP_1) | instskip(NEXT) | instid1(VALU_DEP_1)
	.loc	1 40 29                         ; mxfp_to_bf16.py:40:29
	v_and_b32_e32 v1, 0xffff, v1
	v_lshlrev_b32_e32 v2, 13, v1
	v_lshl_or_b32 v1, v9, 24, v1
	s_delay_alu instid0(VALU_DEP_2)
	v_and_b32_e32 v12, 0xfe00000, v2
	v_lshlrev_b32_e32 v3, 21, v9
	.loc	1 73 46                         ; mxfp_to_bf16.py:73:46
	s_wait_alu depctr_sa_sdst(0)
	v_or3_b32 v2, s4, v0, s11
	.loc	1 40 29                         ; mxfp_to_bf16.py:40:29
	v_and_b32_e32 v14, 0x80008000, v1
	v_mul_f32_e32 v12, 0x77800000, v12
	v_and_b32_e32 v0, 0xfe00000, v3
	s_delay_alu instid0(VALU_DEP_4) | instskip(NEXT) | instid1(VALU_DEP_3)
	.loc	1 74 24                         ; mxfp_to_bf16.py:74:24
	v_ashrrev_i32_e32 v3, 31, v2
	.loc	1 40 29                         ; mxfp_to_bf16.py:40:29
	v_lshrrev_b32_e32 v12, 16, v12
	s_delay_alu instid0(VALU_DEP_3) | instskip(NEXT) | instid1(VALU_DEP_3)
	v_mul_f32_e32 v13, 0x77800000, v0
	.loc	1 74 24                         ; mxfp_to_bf16.py:74:24
	v_lshlrev_b64_e32 v[0:1], 1, v[2:3]
	s_delay_alu instid0(VALU_DEP_2) | instskip(SKIP_1) | instid1(VALU_DEP_2)
	.loc	1 40 29                         ; mxfp_to_bf16.py:40:29
	v_or3_b32 v3, v14, v13, v12
	.loc	1 74 24                         ; mxfp_to_bf16.py:74:24
	s_wait_kmcnt 0x0
	v_add_co_u32 v0, s0, s0, v0
	s_wait_alu depctr_va_sdst(0)
	s_delay_alu instid0(VALU_DEP_3)
	v_add_co_ci_u32_e64 v1, null, s1, v1, s0
	.loc	1 74 33 is_stmt 0               ; mxfp_to_bf16.py:74:33
	s_mov_b32 s0, exec_lo
	.loc	1 74 64                         ; mxfp_to_bf16.py:74:64
	v_cmpx_gt_i32_e64 s10, v2
	.loc	1 74 33                         ; mxfp_to_bf16.py:74:33
	s_cbranch_execz .LBB0_34
; %bb.33:
	.loc	1 45 20 is_stmt 1               ; mxfp_to_bf16.py:45:20
	v_and_b32_e32 v11, 0x7c, v11
	.loc	1 46 54                         ; mxfp_to_bf16.py:46:54
	v_or_b32_e32 v12, 0x7f80, v3
	.loc	1 32 20                         ; mxfp_to_bf16.py:32:20
	s_and_b32 s1, s18, 0xff
	.loc	1 36 41                         ; mxfp_to_bf16.py:36:41
	s_wait_alu depctr_sa_sdst(0)
	s_lshl_b32 s4, s1, 7
	.loc	1 45 39                         ; mxfp_to_bf16.py:45:39
	v_cmp_eq_u16_e32 vcc_lo, 0x7c, v11
	.loc	1 69 20                         ; mxfp_to_bf16.py:69:20
	s_wait_alu depctr_sa_sdst(0)
	s_pack_ll_b32_b16 s4, s4, 0
	.loc	1 71 49                         ; mxfp_to_bf16.py:71:49
	s_cmp_lg_u32 s1, 0xff
	.loc	1 47 16                         ; mxfp_to_bf16.py:47:16
	s_wait_alu depctr_va_vcc(0)
	v_cndmask_b32_e32 v11, v3, v12, vcc_lo
	.loc	1 71 49                         ; mxfp_to_bf16.py:71:49
	s_cselect_b32 vcc_lo, -1, 0
	s_delay_alu instid0(VALU_DEP_1) | instskip(SKIP_1) | instid1(VALU_DEP_1)
	.loc	1 69 20                         ; mxfp_to_bf16.py:69:20
	v_perm_b32 v11, 0, v11, 0x5040100
	s_wait_alu depctr_sa_sdst(0)
	v_dot2_bf16_bf16 v11, v11, s4, 0
	s_delay_alu instid0(VALU_DEP_1)
	.loc	1 71 49                         ; mxfp_to_bf16.py:71:49
	v_cndmask_b32_e32 v11, 0x7fc0, v11, vcc_lo
	.loc	1 74 33                         ; mxfp_to_bf16.py:74:33
	global_store_b16 v[0:1], v11, off
.LBB0_34:
	.loc	1 0 33 is_stmt 0                ; mxfp_to_bf16.py:0:33
	s_wait_alu depctr_sa_sdst(0)
	s_or_b32 exec_lo, exec_lo, s0
	.loc	1 73 46 is_stmt 1               ; mxfp_to_bf16.py:73:46
	v_or_b32_e32 v11, 0x100, v2
	.loc	1 74 33                         ; mxfp_to_bf16.py:74:33
	s_mov_b32 s0, exec_lo
	s_delay_alu instid0(VALU_DEP_1)
	.loc	1 74 64 is_stmt 0               ; mxfp_to_bf16.py:74:64
	v_cmpx_gt_i32_e64 s10, v11
	.loc	1 74 33                         ; mxfp_to_bf16.py:74:33
	s_cbranch_execz .LBB0_36
; %bb.35:
	.loc	1 40 29 is_stmt 1               ; mxfp_to_bf16.py:40:29
	v_lshrrev_b32_e32 v3, 16, v3
	.loc	1 45 20                         ; mxfp_to_bf16.py:45:20
	v_and_b32_e32 v9, 0x7c, v9
	.loc	1 32 20                         ; mxfp_to_bf16.py:32:20
	s_and_b32 s1, s3, 0xff
	.loc	1 36 41                         ; mxfp_to_bf16.py:36:41
	s_wait_alu depctr_sa_sdst(0)
	s_lshl_b32 s3, s1, 7
	.loc	1 46 54                         ; mxfp_to_bf16.py:46:54
	v_or_b32_e32 v11, 0x7f80, v3
	.loc	1 45 39                         ; mxfp_to_bf16.py:45:39
	v_cmp_eq_u16_e32 vcc_lo, 0x7c, v9
	.loc	1 69 20                         ; mxfp_to_bf16.py:69:20
	s_wait_alu depctr_sa_sdst(0)
	s_pack_ll_b32_b16 s3, s3, 0
	.loc	1 71 49                         ; mxfp_to_bf16.py:71:49
	s_cmp_lg_u32 s1, 0xff
	.loc	1 47 16                         ; mxfp_to_bf16.py:47:16
	s_wait_alu depctr_va_vcc(0)
	v_cndmask_b32_e32 v3, v3, v11, vcc_lo
	.loc	1 71 49                         ; mxfp_to_bf16.py:71:49
	s_cselect_b32 vcc_lo, -1, 0
	s_delay_alu instid0(VALU_DEP_1) | instskip(SKIP_1) | instid1(VALU_DEP_1)
	.loc	1 69 20                         ; mxfp_to_bf16.py:69:20
	v_perm_b32 v3, 0, v3, 0x5040100
	s_wait_alu depctr_sa_sdst(0)
	v_dot2_bf16_bf16 v3, v3, s3, 0
	s_delay_alu instid0(VALU_DEP_1)
	.loc	1 71 49                         ; mxfp_to_bf16.py:71:49
	v_cndmask_b32_e32 v3, 0x7fc0, v3, vcc_lo
	.loc	1 74 33                         ; mxfp_to_bf16.py:74:33
	global_store_b16 v[0:1], v3, off offset:512
.LBB0_36:
	.loc	1 0 33 is_stmt 0                ; mxfp_to_bf16.py:0:33
	s_wait_alu depctr_sa_sdst(0)
	s_or_b32 exec_lo, exec_lo, s0
	.loc	1 40 29 is_stmt 1               ; mxfp_to_bf16.py:40:29
	v_lshlrev_b16 v3, 8, v10
	v_lshlrev_b32_e32 v11, 21, v7
	.loc	1 73 46                         ; mxfp_to_bf16.py:73:46
	v_or_b32_e32 v12, 0x200, v2
	.loc	1 74 33                         ; mxfp_to_bf16.py:74:33
	s_mov_b32 s0, exec_lo
	s_delay_alu instid0(VALU_DEP_3) | instskip(NEXT) | instid1(VALU_DEP_3)
	.loc	1 40 29                         ; mxfp_to_bf16.py:40:29
	v_and_b32_e32 v3, 0xffff, v3
	v_and_b32_e32 v11, 0xfe00000, v11
	s_delay_alu instid0(VALU_DEP_2) | instskip(SKIP_1) | instid1(VALU_DEP_3)
	v_lshlrev_b32_e32 v9, 13, v3
	v_lshl_or_b32 v3, v7, 24, v3
	v_mul_f32_e32 v11, 0x77800000, v11
	s_delay_alu instid0(VALU_DEP_3) | instskip(NEXT) | instid1(VALU_DEP_3)
	v_and_b32_e32 v9, 0xfe00000, v9
	v_and_b32_e32 v3, 0x80008000, v3
	s_delay_alu instid0(VALU_DEP_2) | instskip(NEXT) | instid1(VALU_DEP_1)
	v_mul_f32_e32 v9, 0x77800000, v9
	v_lshrrev_b32_e32 v9, 16, v9
	s_delay_alu instid0(VALU_DEP_1)
	v_or3_b32 v3, v3, v11, v9
	.loc	1 74 64                         ; mxfp_to_bf16.py:74:64
	v_cmpx_gt_i32_e64 s10, v12
	.loc	1 74 33 is_stmt 0               ; mxfp_to_bf16.py:74:33
	s_cbranch_execz .LBB0_38
; %bb.37:
	.loc	1 45 20 is_stmt 1               ; mxfp_to_bf16.py:45:20
	v_and_b32_e32 v9, 0x7c, v10
	s_delay_alu instid0(VALU_DEP_3)
	.loc	1 46 54                         ; mxfp_to_bf16.py:46:54
	v_or_b32_e32 v10, 0x7f80, v3
	.loc	1 32 20                         ; mxfp_to_bf16.py:32:20
	s_and_b32 s1, s15, 0xff
	.loc	1 36 41                         ; mxfp_to_bf16.py:36:41
	s_wait_alu depctr_sa_sdst(0)
	s_lshl_b32 s3, s1, 7
	.loc	1 45 39                         ; mxfp_to_bf16.py:45:39
	v_cmp_eq_u16_e32 vcc_lo, 0x7c, v9
	.loc	1 69 20                         ; mxfp_to_bf16.py:69:20
	s_wait_alu depctr_sa_sdst(0)
	s_pack_ll_b32_b16 s3, s3, 0
	.loc	1 71 49                         ; mxfp_to_bf16.py:71:49
	s_cmp_lg_u32 s1, 0xff
	.loc	1 47 16                         ; mxfp_to_bf16.py:47:16
	s_wait_alu depctr_va_vcc(0)
	v_cndmask_b32_e32 v9, v3, v10, vcc_lo
	.loc	1 71 49                         ; mxfp_to_bf16.py:71:49
	s_cselect_b32 vcc_lo, -1, 0
	s_delay_alu instid0(VALU_DEP_1) | instskip(SKIP_1) | instid1(VALU_DEP_1)
	.loc	1 69 20                         ; mxfp_to_bf16.py:69:20
	v_perm_b32 v9, 0, v9, 0x5040100
	s_wait_alu depctr_sa_sdst(0)
	v_dot2_bf16_bf16 v9, v9, s3, 0
	s_delay_alu instid0(VALU_DEP_1)
	.loc	1 71 49                         ; mxfp_to_bf16.py:71:49
	v_cndmask_b32_e32 v9, 0x7fc0, v9, vcc_lo
	.loc	1 74 33                         ; mxfp_to_bf16.py:74:33
	global_store_b16 v[0:1], v9, off offset:1024
.LBB0_38:
	.loc	1 0 33 is_stmt 0                ; mxfp_to_bf16.py:0:33
	s_wait_alu depctr_sa_sdst(0)
	s_or_b32 exec_lo, exec_lo, s0
	.loc	1 73 46 is_stmt 1               ; mxfp_to_bf16.py:73:46
	v_or_b32_e32 v9, 0x300, v2
	.loc	1 74 33                         ; mxfp_to_bf16.py:74:33
	s_mov_b32 s0, exec_lo
	s_delay_alu instid0(VALU_DEP_1)
	.loc	1 74 64 is_stmt 0               ; mxfp_to_bf16.py:74:64
	v_cmpx_gt_i32_e64 s10, v9
	.loc	1 74 33                         ; mxfp_to_bf16.py:74:33
	s_cbranch_execz .LBB0_40
; %bb.39:
	.loc	1 40 29 is_stmt 1               ; mxfp_to_bf16.py:40:29
	v_lshrrev_b32_e32 v3, 16, v3
	.loc	1 45 20                         ; mxfp_to_bf16.py:45:20
	v_and_b32_e32 v7, 0x7c, v7
	.loc	1 32 20                         ; mxfp_to_bf16.py:32:20
	s_and_b32 s1, s14, 0xff
	.loc	1 36 41                         ; mxfp_to_bf16.py:36:41
	s_wait_alu depctr_sa_sdst(0)
	s_lshl_b32 s3, s1, 7
	.loc	1 46 54                         ; mxfp_to_bf16.py:46:54
	v_or_b32_e32 v9, 0x7f80, v3
	.loc	1 45 39                         ; mxfp_to_bf16.py:45:39
	v_cmp_eq_u16_e32 vcc_lo, 0x7c, v7
	.loc	1 69 20                         ; mxfp_to_bf16.py:69:20
	s_wait_alu depctr_sa_sdst(0)
	s_pack_ll_b32_b16 s3, s3, 0
	.loc	1 71 49                         ; mxfp_to_bf16.py:71:49
	s_cmp_lg_u32 s1, 0xff
	.loc	1 47 16                         ; mxfp_to_bf16.py:47:16
	s_wait_alu depctr_va_vcc(0)
	v_cndmask_b32_e32 v3, v3, v9, vcc_lo
	.loc	1 71 49                         ; mxfp_to_bf16.py:71:49
	s_cselect_b32 vcc_lo, -1, 0
	s_delay_alu instid0(VALU_DEP_1) | instskip(SKIP_1) | instid1(VALU_DEP_1)
	.loc	1 69 20                         ; mxfp_to_bf16.py:69:20
	v_perm_b32 v3, 0, v3, 0x5040100
	s_wait_alu depctr_sa_sdst(0)
	v_dot2_bf16_bf16 v3, v3, s3, 0
	s_delay_alu instid0(VALU_DEP_1)
	.loc	1 71 49                         ; mxfp_to_bf16.py:71:49
	v_cndmask_b32_e32 v3, 0x7fc0, v3, vcc_lo
	.loc	1 74 33                         ; mxfp_to_bf16.py:74:33
	global_store_b16 v[0:1], v3, off offset:1536
.LBB0_40:
	.loc	1 0 33 is_stmt 0                ; mxfp_to_bf16.py:0:33
	s_wait_alu depctr_sa_sdst(0)
	s_or_b32 exec_lo, exec_lo, s0
	.loc	1 40 29 is_stmt 1               ; mxfp_to_bf16.py:40:29
	v_lshlrev_b16 v3, 8, v8
	v_lshlrev_b32_e32 v9, 21, v5
	.loc	1 73 46                         ; mxfp_to_bf16.py:73:46
	v_or_b32_e32 v10, 0x400, v2
	.loc	1 74 33                         ; mxfp_to_bf16.py:74:33
	s_mov_b32 s0, exec_lo
	s_delay_alu instid0(VALU_DEP_3) | instskip(NEXT) | instid1(VALU_DEP_3)
	.loc	1 40 29                         ; mxfp_to_bf16.py:40:29
	v_and_b32_e32 v3, 0xffff, v3
	v_and_b32_e32 v9, 0xfe00000, v9
	s_delay_alu instid0(VALU_DEP_2) | instskip(SKIP_1) | instid1(VALU_DEP_3)
	v_lshlrev_b32_e32 v7, 13, v3
	v_lshl_or_b32 v3, v5, 24, v3
	v_mul_f32_e32 v9, 0x77800000, v9
	s_delay_alu instid0(VALU_DEP_3) | instskip(NEXT) | instid1(VALU_DEP_3)
	v_and_b32_e32 v7, 0xfe00000, v7
	v_and_b32_e32 v3, 0x80008000, v3
	s_delay_alu instid0(VALU_DEP_2) | instskip(NEXT) | instid1(VALU_DEP_1)
	v_mul_f32_e32 v7, 0x77800000, v7
	v_lshrrev_b32_e32 v7, 16, v7
	s_delay_alu instid0(VALU_DEP_1)
	v_or3_b32 v3, v3, v9, v7
	.loc	1 74 64                         ; mxfp_to_bf16.py:74:64
	v_cmpx_gt_i32_e64 s10, v10
	.loc	1 74 33 is_stmt 0               ; mxfp_to_bf16.py:74:33
	s_cbranch_execz .LBB0_42
; %bb.41:
	.loc	1 45 20 is_stmt 1               ; mxfp_to_bf16.py:45:20
	v_and_b32_e32 v7, 0x7c, v8
	s_delay_alu instid0(VALU_DEP_3)
	.loc	1 46 54                         ; mxfp_to_bf16.py:46:54
	v_or_b32_e32 v8, 0x7f80, v3
	.loc	1 32 20                         ; mxfp_to_bf16.py:32:20
	s_and_b32 s1, s9, 0xff
	.loc	1 36 41                         ; mxfp_to_bf16.py:36:41
	s_wait_alu depctr_sa_sdst(0)
	s_lshl_b32 s3, s1, 7
	.loc	1 45 39                         ; mxfp_to_bf16.py:45:39
	v_cmp_eq_u16_e32 vcc_lo, 0x7c, v7
	.loc	1 69 20                         ; mxfp_to_bf16.py:69:20
	s_wait_alu depctr_sa_sdst(0)
	s_pack_ll_b32_b16 s3, s3, 0
	.loc	1 71 49                         ; mxfp_to_bf16.py:71:49
	s_cmp_lg_u32 s1, 0xff
	.loc	1 47 16                         ; mxfp_to_bf16.py:47:16
	s_wait_alu depctr_va_vcc(0)
	v_cndmask_b32_e32 v7, v3, v8, vcc_lo
	.loc	1 71 49                         ; mxfp_to_bf16.py:71:49
	s_cselect_b32 vcc_lo, -1, 0
	s_delay_alu instid0(VALU_DEP_1) | instskip(SKIP_1) | instid1(VALU_DEP_1)
	.loc	1 69 20                         ; mxfp_to_bf16.py:69:20
	v_perm_b32 v7, 0, v7, 0x5040100
	s_wait_alu depctr_sa_sdst(0)
	v_dot2_bf16_bf16 v7, v7, s3, 0
	s_delay_alu instid0(VALU_DEP_1)
	.loc	1 71 49                         ; mxfp_to_bf16.py:71:49
	v_cndmask_b32_e32 v7, 0x7fc0, v7, vcc_lo
	.loc	1 74 33                         ; mxfp_to_bf16.py:74:33
	global_store_b16 v[0:1], v7, off offset:2048
.LBB0_42:
	.loc	1 0 33 is_stmt 0                ; mxfp_to_bf16.py:0:33
	s_wait_alu depctr_sa_sdst(0)
	s_or_b32 exec_lo, exec_lo, s0
	.loc	1 73 46 is_stmt 1               ; mxfp_to_bf16.py:73:46
	v_or_b32_e32 v7, 0x500, v2
	.loc	1 74 33                         ; mxfp_to_bf16.py:74:33
	s_mov_b32 s0, exec_lo
	s_delay_alu instid0(VALU_DEP_1)
	.loc	1 74 64 is_stmt 0               ; mxfp_to_bf16.py:74:64
	v_cmpx_gt_i32_e64 s10, v7
	.loc	1 74 33                         ; mxfp_to_bf16.py:74:33
	s_cbranch_execz .LBB0_44
; %bb.43:
	.loc	1 40 29 is_stmt 1               ; mxfp_to_bf16.py:40:29
	v_lshrrev_b32_e32 v3, 16, v3
	.loc	1 45 20                         ; mxfp_to_bf16.py:45:20
	v_and_b32_e32 v5, 0x7c, v5
	.loc	1 32 20                         ; mxfp_to_bf16.py:32:20
	s_and_b32 s1, s8, 0xff
	.loc	1 36 41                         ; mxfp_to_bf16.py:36:41
	s_wait_alu depctr_sa_sdst(0)
	s_lshl_b32 s3, s1, 7
	.loc	1 46 54                         ; mxfp_to_bf16.py:46:54
	v_or_b32_e32 v7, 0x7f80, v3
	.loc	1 45 39                         ; mxfp_to_bf16.py:45:39
	v_cmp_eq_u16_e32 vcc_lo, 0x7c, v5
	.loc	1 69 20                         ; mxfp_to_bf16.py:69:20
	s_wait_alu depctr_sa_sdst(0)
	s_pack_ll_b32_b16 s3, s3, 0
	.loc	1 71 49                         ; mxfp_to_bf16.py:71:49
	s_cmp_lg_u32 s1, 0xff
	.loc	1 47 16                         ; mxfp_to_bf16.py:47:16
	s_wait_alu depctr_va_vcc(0)
	v_cndmask_b32_e32 v3, v3, v7, vcc_lo
	.loc	1 71 49                         ; mxfp_to_bf16.py:71:49
	s_cselect_b32 vcc_lo, -1, 0
	s_delay_alu instid0(VALU_DEP_1) | instskip(SKIP_1) | instid1(VALU_DEP_1)
	.loc	1 69 20                         ; mxfp_to_bf16.py:69:20
	v_perm_b32 v3, 0, v3, 0x5040100
	s_wait_alu depctr_sa_sdst(0)
	v_dot2_bf16_bf16 v3, v3, s3, 0
	s_delay_alu instid0(VALU_DEP_1)
	.loc	1 71 49                         ; mxfp_to_bf16.py:71:49
	v_cndmask_b32_e32 v3, 0x7fc0, v3, vcc_lo
	.loc	1 74 33                         ; mxfp_to_bf16.py:74:33
	global_store_b16 v[0:1], v3, off offset:2560
.LBB0_44:
	.loc	1 0 33 is_stmt 0                ; mxfp_to_bf16.py:0:33
	s_wait_alu depctr_sa_sdst(0)
	s_or_b32 exec_lo, exec_lo, s0
	.loc	1 40 29 is_stmt 1               ; mxfp_to_bf16.py:40:29
	v_lshlrev_b16 v3, 8, v6
	v_lshlrev_b32_e32 v7, 21, v4
	.loc	1 73 46                         ; mxfp_to_bf16.py:73:46
	v_or_b32_e32 v8, 0x600, v2
	.loc	1 74 33                         ; mxfp_to_bf16.py:74:33
	s_mov_b32 s0, exec_lo
	s_delay_alu instid0(VALU_DEP_3) | instskip(NEXT) | instid1(VALU_DEP_3)
	.loc	1 40 29                         ; mxfp_to_bf16.py:40:29
	v_and_b32_e32 v3, 0xffff, v3
	v_and_b32_e32 v7, 0xfe00000, v7
	s_delay_alu instid0(VALU_DEP_2) | instskip(SKIP_1) | instid1(VALU_DEP_3)
	v_lshlrev_b32_e32 v5, 13, v3
	v_lshl_or_b32 v3, v4, 24, v3
	v_mul_f32_e32 v7, 0x77800000, v7
	s_delay_alu instid0(VALU_DEP_3) | instskip(NEXT) | instid1(VALU_DEP_3)
	v_and_b32_e32 v5, 0xfe00000, v5
	v_and_b32_e32 v3, 0x80008000, v3
	s_delay_alu instid0(VALU_DEP_2) | instskip(NEXT) | instid1(VALU_DEP_1)
	v_mul_f32_e32 v5, 0x77800000, v5
	v_lshrrev_b32_e32 v5, 16, v5
	s_delay_alu instid0(VALU_DEP_1)
	v_or3_b32 v3, v3, v7, v5
	.loc	1 74 64                         ; mxfp_to_bf16.py:74:64
	v_cmpx_gt_i32_e64 s10, v8
	.loc	1 74 33 is_stmt 0               ; mxfp_to_bf16.py:74:33
	s_cbranch_execz .LBB0_46
; %bb.45:
	.loc	1 45 20 is_stmt 1               ; mxfp_to_bf16.py:45:20
	v_and_b32_e32 v5, 0x7c, v6
	s_delay_alu instid0(VALU_DEP_3)
	.loc	1 46 54                         ; mxfp_to_bf16.py:46:54
	v_or_b32_e32 v6, 0x7f80, v3
	.loc	1 32 20                         ; mxfp_to_bf16.py:32:20
	s_and_b32 s1, s5, 0xff
	.loc	1 36 41                         ; mxfp_to_bf16.py:36:41
	s_wait_alu depctr_sa_sdst(0)
	s_lshl_b32 s3, s1, 7
	.loc	1 45 39                         ; mxfp_to_bf16.py:45:39
	v_cmp_eq_u16_e32 vcc_lo, 0x7c, v5
	.loc	1 69 20                         ; mxfp_to_bf16.py:69:20
	s_wait_alu depctr_sa_sdst(0)
	s_pack_ll_b32_b16 s3, s3, 0
	.loc	1 71 49                         ; mxfp_to_bf16.py:71:49
	s_cmp_lg_u32 s1, 0xff
	.loc	1 47 16                         ; mxfp_to_bf16.py:47:16
	s_wait_alu depctr_va_vcc(0)
	v_cndmask_b32_e32 v5, v3, v6, vcc_lo
	.loc	1 71 49                         ; mxfp_to_bf16.py:71:49
	s_cselect_b32 vcc_lo, -1, 0
	s_delay_alu instid0(VALU_DEP_1) | instskip(SKIP_1) | instid1(VALU_DEP_1)
	.loc	1 69 20                         ; mxfp_to_bf16.py:69:20
	v_perm_b32 v5, 0, v5, 0x5040100
	s_wait_alu depctr_sa_sdst(0)
	v_dot2_bf16_bf16 v5, v5, s3, 0
	s_delay_alu instid0(VALU_DEP_1)
	.loc	1 71 49                         ; mxfp_to_bf16.py:71:49
	v_cndmask_b32_e32 v5, 0x7fc0, v5, vcc_lo
	.loc	1 74 33                         ; mxfp_to_bf16.py:74:33
	global_store_b16 v[0:1], v5, off offset:3072
.LBB0_46:
	.loc	1 0 33 is_stmt 0                ; mxfp_to_bf16.py:0:33
	s_wait_alu depctr_sa_sdst(0)
	s_or_b32 exec_lo, exec_lo, s0
	.loc	1 73 46 is_stmt 1               ; mxfp_to_bf16.py:73:46
	v_or_b32_e32 v2, 0x700, v2
	.loc	1 74 33                         ; mxfp_to_bf16.py:74:33
	s_mov_b32 s0, exec_lo
	s_delay_alu instid0(VALU_DEP_1)
	.loc	1 74 64 is_stmt 0               ; mxfp_to_bf16.py:74:64
	v_cmpx_gt_i32_e64 s10, v2
	.loc	1 74 33                         ; mxfp_to_bf16.py:74:33
	s_cbranch_execz .LBB0_48
; %bb.47:
	.loc	1 40 29 is_stmt 1               ; mxfp_to_bf16.py:40:29
	v_lshrrev_b32_e32 v2, 16, v3
	.loc	1 45 20                         ; mxfp_to_bf16.py:45:20
	v_and_b32_e32 v3, 0x7c, v4
	.loc	1 32 20                         ; mxfp_to_bf16.py:32:20
	s_and_b32 s0, s2, 0xff
	.loc	1 36 41                         ; mxfp_to_bf16.py:36:41
	s_wait_alu depctr_sa_sdst(0)
	s_lshl_b32 s1, s0, 7
	.loc	1 46 54                         ; mxfp_to_bf16.py:46:54
	v_or_b32_e32 v4, 0x7f80, v2
	.loc	1 45 39                         ; mxfp_to_bf16.py:45:39
	v_cmp_eq_u16_e32 vcc_lo, 0x7c, v3
	.loc	1 69 20                         ; mxfp_to_bf16.py:69:20
	s_wait_alu depctr_sa_sdst(0)
	s_pack_ll_b32_b16 s1, s1, 0
	.loc	1 71 49                         ; mxfp_to_bf16.py:71:49
	s_cmp_lg_u32 s0, 0xff
	.loc	1 47 16                         ; mxfp_to_bf16.py:47:16
	s_wait_alu depctr_va_vcc(0)
	v_cndmask_b32_e32 v2, v2, v4, vcc_lo
	.loc	1 71 49                         ; mxfp_to_bf16.py:71:49
	s_cselect_b32 vcc_lo, -1, 0
	s_delay_alu instid0(VALU_DEP_1) | instskip(SKIP_1) | instid1(VALU_DEP_1)
	.loc	1 69 20                         ; mxfp_to_bf16.py:69:20
	v_perm_b32 v2, 0, v2, 0x5040100
	s_wait_alu depctr_sa_sdst(0)
	v_dot2_bf16_bf16 v2, v2, s1, 0
	s_delay_alu instid0(VALU_DEP_1)
	.loc	1 71 49                         ; mxfp_to_bf16.py:71:49
	v_cndmask_b32_e32 v2, 0x7fc0, v2, vcc_lo
	.loc	1 74 33                         ; mxfp_to_bf16.py:74:33
	global_store_b16 v[0:1], v2, off offset:3584
.LBB0_48:
	.loc	1 74 4 is_stmt 0                ; mxfp_to_bf16.py:74:4
	s_endpgm
.Ltmp1:
	.section	.rodata,"a",@progbits
	.p2align	6, 0x0
	.amdhsa_kernel mxfp_to_bf16_kernel
		.amdhsa_group_segment_fixed_size 0
		.amdhsa_private_segment_fixed_size 0
		.amdhsa_kernarg_size 48
		.amdhsa_user_sgpr_count 2
		.amdhsa_user_sgpr_dispatch_ptr 0
		.amdhsa_user_sgpr_queue_ptr 0
		.amdhsa_user_sgpr_kernarg_segment_ptr 1
		.amdhsa_user_sgpr_dispatch_id 0
		.amdhsa_user_sgpr_private_segment_size 0
		.amdhsa_wavefront_size32 1
		.amdhsa_uses_dynamic_stack 0
		.amdhsa_enable_private_segment 0
		.amdhsa_system_sgpr_workgroup_id_x 1
		.amdhsa_system_sgpr_workgroup_id_y 1
		.amdhsa_system_sgpr_workgroup_id_z 1
		.amdhsa_system_sgpr_workgroup_info 0
		.amdhsa_system_vgpr_workitem_id 0
		.amdhsa_next_free_vgpr 15
		.amdhsa_next_free_sgpr 22
		.amdhsa_reserve_vcc 1
		.amdhsa_float_round_mode_32 0
		.amdhsa_float_round_mode_16_64 0
		.amdhsa_float_denorm_mode_32 3
		.amdhsa_float_denorm_mode_16_64 3
		.amdhsa_fp16_overflow 0
		.amdhsa_workgroup_processor_mode 1
		.amdhsa_memory_ordered 1
		.amdhsa_forward_progress 1
		.amdhsa_inst_pref_size 23
		.amdhsa_round_robin_scheduling 0
		.amdhsa_exception_fp_ieee_invalid_op 0
		.amdhsa_exception_fp_denorm_src 0
		.amdhsa_exception_fp_ieee_div_zero 0
		.amdhsa_exception_fp_ieee_overflow 0
		.amdhsa_exception_fp_ieee_underflow 0
		.amdhsa_exception_fp_ieee_inexact 0
		.amdhsa_exception_int_div_zero 0
	.end_amdhsa_kernel
	.text
.Lfunc_end0:
	.size	mxfp_to_bf16_kernel, .Lfunc_end0-mxfp_to_bf16_kernel
	.cfi_endproc
                                        ; -- End function
	.set mxfp_to_bf16_kernel.num_vgpr, 15
	.set mxfp_to_bf16_kernel.num_agpr, 0
	.set mxfp_to_bf16_kernel.numbered_sgpr, 22
	.set mxfp_to_bf16_kernel.num_named_barrier, 0
	.set mxfp_to_bf16_kernel.private_seg_size, 0
	.set mxfp_to_bf16_kernel.uses_vcc, 1
	.set mxfp_to_bf16_kernel.uses_flat_scratch, 0
	.set mxfp_to_bf16_kernel.has_dyn_sized_stack, 0
	.set mxfp_to_bf16_kernel.has_recursion, 0
	.set mxfp_to_bf16_kernel.has_indirect_call, 0
	.section	.AMDGPU.csdata,"",@progbits
; Kernel info:
; codeLenInByte = 2900
; TotalNumSgprs: 24
; NumVgprs: 15
; ScratchSize: 0
; MemoryBound: 0
; FloatMode: 240
; IeeeMode: 1
; LDSByteSize: 0 bytes/workgroup (compile time only)
; SGPRBlocks: 0
; VGPRBlocks: 1
; NumSGPRsForWavesPerEU: 24
; NumVGPRsForWavesPerEU: 15
; Occupancy: 16
; WaveLimiterHint : 0
; COMPUTE_PGM_RSRC2:SCRATCH_EN: 0
; COMPUTE_PGM_RSRC2:USER_SGPR: 2
; COMPUTE_PGM_RSRC2:TRAP_HANDLER: 0
; COMPUTE_PGM_RSRC2:TGID_X_EN: 1
; COMPUTE_PGM_RSRC2:TGID_Y_EN: 1
; COMPUTE_PGM_RSRC2:TGID_Z_EN: 1
; COMPUTE_PGM_RSRC2:TIDIG_COMP_CNT: 0
	.text
	.p2alignl 7, 3214868480
	.fill 96, 4, 3214868480
	.section	.AMDGPU.gpr_maximums,"",@progbits
	.set amdgpu.max_num_vgpr, 0
	.set amdgpu.max_num_agpr, 0
	.set amdgpu.max_num_sgpr, 0
	.set amdgpu.max_num_named_barrier, 0
	.text
	.section	.debug_abbrev,"",@progbits
	.byte	1                               ; Abbreviation Code
	.byte	17                              ; DW_TAG_compile_unit
	.byte	0                               ; DW_CHILDREN_no
	.byte	37                              ; DW_AT_producer
	.byte	14                              ; DW_FORM_strp
	.byte	19                              ; DW_AT_language
	.byte	5                               ; DW_FORM_data2
	.byte	3                               ; DW_AT_name
	.byte	14                              ; DW_FORM_strp
	.byte	16                              ; DW_AT_stmt_list
	.byte	23                              ; DW_FORM_sec_offset
	.byte	27                              ; DW_AT_comp_dir
	.byte	14                              ; DW_FORM_strp
	.byte	17                              ; DW_AT_low_pc
	.byte	1                               ; DW_FORM_addr
	.byte	18                              ; DW_AT_high_pc
	.byte	6                               ; DW_FORM_data4
	.byte	0                               ; EOM(1)
	.byte	0                               ; EOM(2)
	;; [unrolled: 1-line block ×3, first 2 shown]
	.section	.debug_info,"",@progbits
.Lcu_begin0:
	.long	.Ldebug_info_end0-.Ldebug_info_start0 ; Length of Unit
.Ldebug_info_start0:
	.short	4                               ; DWARF version number
	.long	.debug_abbrev                   ; Offset Into Abbrev. Section
	.byte	8                               ; Address Size (in bytes)
	.byte	1                               ; Abbrev [1] 0xb:0x1f DW_TAG_compile_unit
	.long	.Linfo_string0                  ; DW_AT_producer
	.short	2                               ; DW_AT_language
	.long	.Linfo_string1                  ; DW_AT_name
	.long	.Lline_table_start0             ; DW_AT_stmt_list
	.long	.Linfo_string2                  ; DW_AT_comp_dir
	.quad	.Lfunc_begin0                   ; DW_AT_low_pc
	.long	.Lfunc_end0-.Lfunc_begin0       ; DW_AT_high_pc
.Ldebug_info_end0:
	.section	.debug_str,"MS",@progbits,1
.Linfo_string0:
	.asciz	"triton"                        ; string offset=0
.Linfo_string1:
	.asciz	"mxfp_to_bf16.py"               ; string offset=7
.Linfo_string2:
	.asciz	"/root/src/amdgpu-assembly/repos/triton-lang__triton-aot" ; string offset=23
	.section	".note.GNU-stack","",@progbits
	.amdgpu_metadata
---
amdhsa.kernels:
  - .args:
      - .address_space:  global
        .offset:         0
        .size:           8
        .value_kind:     global_buffer
      - .address_space:  global
        .offset:         8
        .size:           8
        .value_kind:     global_buffer
      - .address_space:  global
        .offset:         16
        .size:           8
        .value_kind:     global_buffer
      - .offset:         24
        .size:           4
        .value_kind:     by_value
      - .address_space:  global
        .offset:         32
        .size:           8
        .value_kind:     global_buffer
      - .address_space:  global
        .offset:         40
        .size:           8
        .value_kind:     global_buffer
    .group_segment_fixed_size: 0
    .kernarg_segment_align: 8
    .kernarg_segment_size: 48
    .max_flat_workgroup_size: 256
    .name:           mxfp_to_bf16_kernel
    .private_segment_fixed_size: 0
    .sgpr_count:     24
    .sgpr_spill_count: 0
    .symbol:         mxfp_to_bf16_kernel.kd
    .uniform_work_group_size: 1
    .uses_dynamic_stack: false
    .vgpr_count:     15
    .vgpr_spill_count: 0
    .wavefront_size: 32
    .workgroup_processor_mode: 1
amdhsa.target:   amdgcn-amd-amdhsa--gfx1201
amdhsa.version:
  - 1
  - 2
...

	.end_amdgpu_metadata
	.section	.debug_line,"",@progbits
.Lline_table_start0:
